;; amdgpu-corpus repo=ROCm/rocFFT kind=compiled arch=gfx906 opt=O3
	.text
	.amdgcn_target "amdgcn-amd-amdhsa--gfx906"
	.amdhsa_code_object_version 6
	.protected	fft_rtc_fwd_len540_factors_3_10_6_3_wgs_216_tpt_54_halfLds_half_ip_CI_unitstride_sbrr_R2C_dirReg ; -- Begin function fft_rtc_fwd_len540_factors_3_10_6_3_wgs_216_tpt_54_halfLds_half_ip_CI_unitstride_sbrr_R2C_dirReg
	.globl	fft_rtc_fwd_len540_factors_3_10_6_3_wgs_216_tpt_54_halfLds_half_ip_CI_unitstride_sbrr_R2C_dirReg
	.p2align	8
	.type	fft_rtc_fwd_len540_factors_3_10_6_3_wgs_216_tpt_54_halfLds_half_ip_CI_unitstride_sbrr_R2C_dirReg,@function
fft_rtc_fwd_len540_factors_3_10_6_3_wgs_216_tpt_54_halfLds_half_ip_CI_unitstride_sbrr_R2C_dirReg: ; @fft_rtc_fwd_len540_factors_3_10_6_3_wgs_216_tpt_54_halfLds_half_ip_CI_unitstride_sbrr_R2C_dirReg
; %bb.0:
	s_load_dwordx2 s[12:13], s[4:5], 0x50
	s_load_dwordx4 s[8:11], s[4:5], 0x0
	s_load_dwordx2 s[2:3], s[4:5], 0x18
	v_mul_u32_u24_e32 v1, 0x4be, v0
	v_lshrrev_b32_e32 v9, 16, v1
	v_mov_b32_e32 v3, 0
	s_waitcnt lgkmcnt(0)
	v_cmp_lt_u64_e64 s[0:1], s[10:11], 2
	v_mov_b32_e32 v1, 0
	v_lshl_add_u32 v5, s6, 2, v9
	v_mov_b32_e32 v6, v3
	s_and_b64 vcc, exec, s[0:1]
	v_mov_b32_e32 v2, 0
	s_cbranch_vccnz .LBB0_8
; %bb.1:
	s_load_dwordx2 s[0:1], s[4:5], 0x10
	s_add_u32 s6, s2, 8
	s_addc_u32 s7, s3, 0
	v_mov_b32_e32 v1, 0
	v_mov_b32_e32 v2, 0
	s_waitcnt lgkmcnt(0)
	s_add_u32 s14, s0, 8
	s_addc_u32 s15, s1, 0
	s_mov_b64 s[16:17], 1
.LBB0_2:                                ; =>This Inner Loop Header: Depth=1
	s_load_dwordx2 s[18:19], s[14:15], 0x0
                                        ; implicit-def: $vgpr7_vgpr8
	s_waitcnt lgkmcnt(0)
	v_or_b32_e32 v4, s19, v6
	v_cmp_ne_u64_e32 vcc, 0, v[3:4]
	s_and_saveexec_b64 s[0:1], vcc
	s_xor_b64 s[20:21], exec, s[0:1]
	s_cbranch_execz .LBB0_4
; %bb.3:                                ;   in Loop: Header=BB0_2 Depth=1
	v_cvt_f32_u32_e32 v4, s18
	v_cvt_f32_u32_e32 v7, s19
	s_sub_u32 s0, 0, s18
	s_subb_u32 s1, 0, s19
	v_mac_f32_e32 v4, 0x4f800000, v7
	v_rcp_f32_e32 v4, v4
	v_mul_f32_e32 v4, 0x5f7ffffc, v4
	v_mul_f32_e32 v7, 0x2f800000, v4
	v_trunc_f32_e32 v7, v7
	v_mac_f32_e32 v4, 0xcf800000, v7
	v_cvt_u32_f32_e32 v7, v7
	v_cvt_u32_f32_e32 v4, v4
	v_mul_lo_u32 v8, s0, v7
	v_mul_hi_u32 v10, s0, v4
	v_mul_lo_u32 v12, s1, v4
	v_mul_lo_u32 v11, s0, v4
	v_add_u32_e32 v8, v10, v8
	v_add_u32_e32 v8, v8, v12
	v_mul_hi_u32 v10, v4, v11
	v_mul_lo_u32 v12, v4, v8
	v_mul_hi_u32 v14, v4, v8
	v_mul_hi_u32 v13, v7, v11
	v_mul_lo_u32 v11, v7, v11
	v_mul_hi_u32 v15, v7, v8
	v_add_co_u32_e32 v10, vcc, v10, v12
	v_addc_co_u32_e32 v12, vcc, 0, v14, vcc
	v_mul_lo_u32 v8, v7, v8
	v_add_co_u32_e32 v10, vcc, v10, v11
	v_addc_co_u32_e32 v10, vcc, v12, v13, vcc
	v_addc_co_u32_e32 v11, vcc, 0, v15, vcc
	v_add_co_u32_e32 v8, vcc, v10, v8
	v_addc_co_u32_e32 v10, vcc, 0, v11, vcc
	v_add_co_u32_e32 v4, vcc, v4, v8
	v_addc_co_u32_e32 v7, vcc, v7, v10, vcc
	v_mul_lo_u32 v8, s0, v7
	v_mul_hi_u32 v10, s0, v4
	v_mul_lo_u32 v11, s1, v4
	v_mul_lo_u32 v12, s0, v4
	v_add_u32_e32 v8, v10, v8
	v_add_u32_e32 v8, v8, v11
	v_mul_lo_u32 v13, v4, v8
	v_mul_hi_u32 v14, v4, v12
	v_mul_hi_u32 v15, v4, v8
	;; [unrolled: 1-line block ×3, first 2 shown]
	v_mul_lo_u32 v12, v7, v12
	v_mul_hi_u32 v10, v7, v8
	v_add_co_u32_e32 v13, vcc, v14, v13
	v_addc_co_u32_e32 v14, vcc, 0, v15, vcc
	v_mul_lo_u32 v8, v7, v8
	v_add_co_u32_e32 v12, vcc, v13, v12
	v_addc_co_u32_e32 v11, vcc, v14, v11, vcc
	v_addc_co_u32_e32 v10, vcc, 0, v10, vcc
	v_add_co_u32_e32 v8, vcc, v11, v8
	v_addc_co_u32_e32 v10, vcc, 0, v10, vcc
	v_add_co_u32_e32 v4, vcc, v4, v8
	v_addc_co_u32_e32 v10, vcc, v7, v10, vcc
	v_mad_u64_u32 v[7:8], s[0:1], v5, v10, 0
	v_mul_hi_u32 v11, v5, v4
	v_add_co_u32_e32 v12, vcc, v11, v7
	v_addc_co_u32_e32 v13, vcc, 0, v8, vcc
	v_mad_u64_u32 v[7:8], s[0:1], v6, v4, 0
	v_mad_u64_u32 v[10:11], s[0:1], v6, v10, 0
	v_add_co_u32_e32 v4, vcc, v12, v7
	v_addc_co_u32_e32 v4, vcc, v13, v8, vcc
	v_addc_co_u32_e32 v7, vcc, 0, v11, vcc
	v_add_co_u32_e32 v4, vcc, v4, v10
	v_addc_co_u32_e32 v10, vcc, 0, v7, vcc
	v_mul_lo_u32 v11, s19, v4
	v_mul_lo_u32 v12, s18, v10
	v_mad_u64_u32 v[7:8], s[0:1], s18, v4, 0
	v_add3_u32 v8, v8, v12, v11
	v_sub_u32_e32 v11, v6, v8
	v_mov_b32_e32 v12, s19
	v_sub_co_u32_e32 v7, vcc, v5, v7
	v_subb_co_u32_e64 v11, s[0:1], v11, v12, vcc
	v_subrev_co_u32_e64 v12, s[0:1], s18, v7
	v_subbrev_co_u32_e64 v11, s[0:1], 0, v11, s[0:1]
	v_cmp_le_u32_e64 s[0:1], s19, v11
	v_cndmask_b32_e64 v13, 0, -1, s[0:1]
	v_cmp_le_u32_e64 s[0:1], s18, v12
	v_cndmask_b32_e64 v12, 0, -1, s[0:1]
	v_cmp_eq_u32_e64 s[0:1], s19, v11
	v_cndmask_b32_e64 v11, v13, v12, s[0:1]
	v_add_co_u32_e64 v12, s[0:1], 2, v4
	v_addc_co_u32_e64 v13, s[0:1], 0, v10, s[0:1]
	v_add_co_u32_e64 v14, s[0:1], 1, v4
	v_addc_co_u32_e64 v15, s[0:1], 0, v10, s[0:1]
	v_subb_co_u32_e32 v8, vcc, v6, v8, vcc
	v_cmp_ne_u32_e64 s[0:1], 0, v11
	v_cmp_le_u32_e32 vcc, s19, v8
	v_cndmask_b32_e64 v11, v15, v13, s[0:1]
	v_cndmask_b32_e64 v13, 0, -1, vcc
	v_cmp_le_u32_e32 vcc, s18, v7
	v_cndmask_b32_e64 v7, 0, -1, vcc
	v_cmp_eq_u32_e32 vcc, s19, v8
	v_cndmask_b32_e32 v7, v13, v7, vcc
	v_cmp_ne_u32_e32 vcc, 0, v7
	v_cndmask_b32_e64 v7, v14, v12, s[0:1]
	v_cndmask_b32_e32 v8, v10, v11, vcc
	v_cndmask_b32_e32 v7, v4, v7, vcc
.LBB0_4:                                ;   in Loop: Header=BB0_2 Depth=1
	s_andn2_saveexec_b64 s[0:1], s[20:21]
	s_cbranch_execz .LBB0_6
; %bb.5:                                ;   in Loop: Header=BB0_2 Depth=1
	v_cvt_f32_u32_e32 v4, s18
	s_sub_i32 s20, 0, s18
	v_rcp_iflag_f32_e32 v4, v4
	v_mul_f32_e32 v4, 0x4f7ffffe, v4
	v_cvt_u32_f32_e32 v4, v4
	v_mul_lo_u32 v7, s20, v4
	v_mul_hi_u32 v7, v4, v7
	v_add_u32_e32 v4, v4, v7
	v_mul_hi_u32 v4, v5, v4
	v_mul_lo_u32 v7, v4, s18
	v_add_u32_e32 v8, 1, v4
	v_sub_u32_e32 v7, v5, v7
	v_subrev_u32_e32 v10, s18, v7
	v_cmp_le_u32_e32 vcc, s18, v7
	v_cndmask_b32_e32 v7, v7, v10, vcc
	v_cndmask_b32_e32 v4, v4, v8, vcc
	v_add_u32_e32 v8, 1, v4
	v_cmp_le_u32_e32 vcc, s18, v7
	v_cndmask_b32_e32 v7, v4, v8, vcc
	v_mov_b32_e32 v8, v3
.LBB0_6:                                ;   in Loop: Header=BB0_2 Depth=1
	s_or_b64 exec, exec, s[0:1]
	v_mul_lo_u32 v4, v8, s18
	v_mul_lo_u32 v12, v7, s19
	v_mad_u64_u32 v[10:11], s[0:1], v7, s18, 0
	s_load_dwordx2 s[0:1], s[6:7], 0x0
	s_add_u32 s16, s16, 1
	v_add3_u32 v4, v11, v12, v4
	v_sub_co_u32_e32 v5, vcc, v5, v10
	v_subb_co_u32_e32 v4, vcc, v6, v4, vcc
	s_waitcnt lgkmcnt(0)
	v_mul_lo_u32 v4, s0, v4
	v_mul_lo_u32 v6, s1, v5
	v_mad_u64_u32 v[1:2], s[0:1], s0, v5, v[1:2]
	s_addc_u32 s17, s17, 0
	s_add_u32 s6, s6, 8
	v_add3_u32 v2, v6, v2, v4
	v_mov_b32_e32 v4, s10
	v_mov_b32_e32 v5, s11
	s_addc_u32 s7, s7, 0
	v_cmp_ge_u64_e32 vcc, s[16:17], v[4:5]
	s_add_u32 s14, s14, 8
	s_addc_u32 s15, s15, 0
	s_cbranch_vccnz .LBB0_9
; %bb.7:                                ;   in Loop: Header=BB0_2 Depth=1
	v_mov_b32_e32 v5, v7
	v_mov_b32_e32 v6, v8
	s_branch .LBB0_2
.LBB0_8:
	v_mov_b32_e32 v8, v6
	v_mov_b32_e32 v7, v5
.LBB0_9:
	s_lshl_b64 s[0:1], s[10:11], 3
	s_add_u32 s0, s2, s0
	s_addc_u32 s1, s3, s1
	s_load_dwordx2 s[2:3], s[0:1], 0x0
	s_load_dwordx2 s[6:7], s[4:5], 0x20
	v_and_b32_e32 v3, 3, v9
	s_waitcnt lgkmcnt(0)
	v_mad_u64_u32 v[1:2], s[0:1], s2, v7, v[1:2]
	s_mov_b32 s0, 0x4bda130
	v_mul_lo_u32 v4, s2, v8
	v_mul_lo_u32 v5, s3, v7
	v_mul_hi_u32 v6, v0, s0
	v_cmp_gt_u64_e32 vcc, s[6:7], v[7:8]
	v_cmp_le_u64_e64 s[0:1], s[6:7], v[7:8]
	v_add3_u32 v2, v5, v2, v4
	v_mul_u32_u24_e32 v4, 54, v6
	v_sub_u32_e32 v0, v0, v4
	v_add_u32_e32 v6, 54, v0
                                        ; implicit-def: $vgpr8
                                        ; implicit-def: $vgpr4
	s_and_saveexec_b64 s[2:3], s[0:1]
	s_xor_b64 s[0:1], exec, s[2:3]
; %bb.10:
	v_add_u32_e32 v6, 54, v0
	v_add_u32_e32 v8, 0x6c, v0
	;; [unrolled: 1-line block ×3, first 2 shown]
; %bb.11:
	s_or_saveexec_b64 s[2:3], s[0:1]
	v_mul_u32_u24_e32 v5, 0x21d, v3
	v_lshlrev_b64 v[2:3], 2, v[1:2]
	v_lshlrev_b32_e32 v7, 2, v5
	v_lshlrev_b32_e32 v5, 2, v0
	s_xor_b64 exec, exec, s[2:3]
	s_cbranch_execz .LBB0_13
; %bb.12:
	v_mov_b32_e32 v1, 0
	v_mov_b32_e32 v4, s13
	v_add_co_u32_e64 v10, s[0:1], s12, v2
	v_lshlrev_b64 v[8:9], 2, v[0:1]
	v_addc_co_u32_e64 v4, s[0:1], v4, v3, s[0:1]
	v_add_co_u32_e64 v8, s[0:1], v10, v8
	v_addc_co_u32_e64 v9, s[0:1], v4, v9, s[0:1]
	global_load_dword v1, v[8:9], off
	global_load_dword v10, v[8:9], off offset:216
	global_load_dword v11, v[8:9], off offset:432
	;; [unrolled: 1-line block ×9, first 2 shown]
	v_add3_u32 v9, 0, v7, v5
	v_add_u32_e32 v8, 0x6c, v0
	v_add_u32_e32 v4, 0xa2, v0
	;; [unrolled: 1-line block ×4, first 2 shown]
	s_waitcnt vmcnt(8)
	ds_write2_b32 v9, v1, v10 offset1:54
	s_waitcnt vmcnt(6)
	ds_write2_b32 v9, v11, v12 offset0:108 offset1:162
	s_waitcnt vmcnt(4)
	ds_write2_b32 v19, v13, v14 offset0:88 offset1:142
	;; [unrolled: 2-line block ×4, first 2 shown]
.LBB0_13:
	s_or_b64 exec, exec, s[2:3]
	v_add3_u32 v1, 0, v5, v7
	v_add_u32_e32 v16, 0x200, v1
	s_waitcnt lgkmcnt(0)
	s_barrier
	ds_read2_b32 v[17:18], v1 offset0:54 offset1:108
	ds_read2_b32 v[9:10], v16 offset0:106 offset1:160
	v_add_u32_e32 v13, 0x400, v1
	ds_read2_b32 v[14:15], v13 offset0:158 offset1:212
	v_add_u32_e32 v20, 0, v7
	v_add_u32_e32 v19, v20, v5
	s_waitcnt lgkmcnt(1)
	v_pk_add_f16 v11, v18, v10
	v_pk_add_f16 v21, v17, v9
	s_waitcnt lgkmcnt(0)
	v_pk_add_f16 v22, v9, v14
	v_pk_add_f16 v23, v9, v14 neg_lo:[0,1] neg_hi:[0,1]
	v_pk_add_f16 v24, v10, v15
	v_pk_add_f16 v25, v10, v15 neg_lo:[0,1] neg_hi:[0,1]
	v_pk_add_f16 v15, v11, v15
	ds_read2_b32 v[9:10], v1 offset0:162 offset1:180
	ds_read2_b32 v[11:12], v13 offset0:86 offset1:104
	ds_read_b32 v26, v19
	s_movk_i32 s0, 0x3aee
	v_pk_add_f16 v21, v21, v14
	ds_read_b32 v14, v1 offset:2088
	s_waitcnt lgkmcnt(2)
	v_pk_add_f16 v27, v10, v12
	v_pk_add_f16 v28, v10, v12 neg_lo:[0,1] neg_hi:[0,1]
	s_waitcnt lgkmcnt(1)
	v_pk_fma_f16 v27, v27, 0.5, v26 op_sel_hi:[1,0,1] neg_lo:[1,0,0] neg_hi:[1,0,0]
	v_pk_mul_f16 v28, v28, s0 op_sel_hi:[1,0]
	v_pk_add_f16 v29, v27, v28 op_sel:[0,1] op_sel_hi:[1,0]
	v_pk_add_f16 v27, v27, v28 op_sel:[0,1] op_sel_hi:[1,0] neg_lo:[0,1] neg_hi:[0,1]
	v_pk_add_f16 v10, v26, v10
	s_mov_b32 s1, 0xffff
	v_pk_add_f16 v10, v10, v12
	v_lshl_add_u32 v12, v0, 3, v1
	v_bfi_b32 v26, s1, v29, v27
	s_waitcnt lgkmcnt(0)
	s_barrier
	ds_write2_b32 v12, v10, v26 offset1:1
	v_bfi_b32 v10, s1, v27, v29
	ds_write_b32 v12, v10 offset:8
	v_pk_fma_f16 v10, v22, 0.5, v17 op_sel_hi:[1,0,1] neg_lo:[1,0,0] neg_hi:[1,0,0]
	v_pk_mul_f16 v12, v23, s0 op_sel_hi:[1,0]
	v_pk_add_f16 v17, v10, v12 op_sel:[0,1] op_sel_hi:[1,0]
	v_pk_add_f16 v10, v10, v12 op_sel:[0,1] op_sel_hi:[1,0] neg_lo:[0,1] neg_hi:[0,1]
	v_mad_i32_i24 v12, v6, 12, 0
	v_add_u32_e32 v22, v12, v7
	v_bfi_b32 v23, s1, v17, v10
	v_bfi_b32 v10, s1, v10, v17
	ds_write_b32 v22, v10 offset:8
	v_pk_fma_f16 v10, v24, 0.5, v18 op_sel_hi:[1,0,1] neg_lo:[1,0,0] neg_hi:[1,0,0]
	v_pk_mul_f16 v17, v25, s0 op_sel_hi:[1,0]
	ds_write2_b32 v22, v21, v23 offset1:1
	v_pk_add_f16 v18, v10, v17 op_sel:[0,1] op_sel_hi:[1,0]
	v_pk_add_f16 v10, v10, v17 op_sel:[0,1] op_sel_hi:[1,0] neg_lo:[0,1] neg_hi:[0,1]
	v_mad_i32_i24 v21, v8, 12, 0
	v_add_u32_e32 v17, v21, v7
	v_bfi_b32 v22, s1, v18, v10
	v_bfi_b32 v10, s1, v10, v18
	ds_write_b32 v17, v10 offset:8
	v_pk_add_f16 v10, v11, v14
	ds_write2_b32 v17, v15, v22 offset1:1
	v_pk_fma_f16 v10, v10, 0.5, v9 op_sel_hi:[1,0,1] neg_lo:[1,0,0] neg_hi:[1,0,0]
	v_pk_add_f16 v15, v11, v14 neg_lo:[0,1] neg_hi:[0,1]
	v_pk_fma_f16 v17, v15, s0, v10 op_sel:[0,0,1] op_sel_hi:[1,0,0]
	v_pk_fma_f16 v18, v15, s0, v10 op_sel:[0,0,1] op_sel_hi:[1,0,0] neg_lo:[1,0,0] neg_hi:[1,0,0]
	v_cmp_gt_u32_e64 s[0:1], 18, v0
	v_lshrrev_b32_e32 v10, 16, v17
	s_and_saveexec_b64 s[2:3], s[0:1]
	s_cbranch_execz .LBB0_15
; %bb.14:
	v_mul_i32_i24_e32 v15, 12, v4
	v_pk_add_f16 v9, v9, v11
	v_add3_u32 v15, 0, v15, v7
	v_pk_add_f16 v9, v9, v14
	s_mov_b32 s4, 0x5040100
	ds_write_b32 v15, v9
	v_perm_b32 v9, v18, v10, s4
	v_alignbit_b32 v11, v17, v18, 16
	ds_write2_b32 v15, v9, v11 offset0:1 offset1:2
.LBB0_15:
	s_or_b64 exec, exec, s[2:3]
	s_movk_i32 s2, 0xab
	v_mul_lo_u16_sdwa v9, v0, s2 dst_sel:DWORD dst_unused:UNUSED_PAD src0_sel:BYTE_0 src1_sel:DWORD
	v_lshrrev_b16_e32 v14, 9, v9
	v_mul_lo_u16_e32 v9, 3, v14
	v_sub_u16_e32 v15, v0, v9
	v_mov_b32_e32 v9, 9
	v_mul_u32_u24_sdwa v9, v15, v9 dst_sel:DWORD dst_unused:UNUSED_PAD src0_sel:BYTE_0 src1_sel:DWORD
	v_lshlrev_b32_e32 v9, 2, v9
	s_waitcnt lgkmcnt(0)
	s_barrier
	global_load_dwordx4 v[24:27], v9, s[8:9]
	global_load_dwordx4 v[28:31], v9, s[8:9] offset:16
	global_load_dword v11, v9, s[8:9] offset:32
	v_lshlrev_b32_e32 v9, 3, v6
	v_lshlrev_b32_e32 v22, 3, v8
	;; [unrolled: 1-line block ×3, first 2 shown]
	v_sub_u32_e32 v9, v12, v9
	v_sub_u32_e32 v12, v21, v22
	v_add3_u32 v23, 0, v23, v7
	ds_read2_b32 v[32:33], v16 offset0:88 offset1:142
	ds_read2_b32 v[34:35], v13 offset0:68 offset1:122
	ds_read2_b32 v[36:37], v13 offset0:176 offset1:230
	v_add_u32_e32 v22, v9, v7
	v_add_u32_e32 v21, v12, v7
	ds_read_b32 v9, v23
	ds_read_b32 v12, v21
	;; [unrolled: 1-line block ×4, first 2 shown]
	s_waitcnt lgkmcnt(6)
	v_lshrrev_b32_e32 v39, 16, v32
	s_waitcnt lgkmcnt(5)
	v_lshrrev_b32_e32 v41, 16, v34
	;; [unrolled: 2-line block ×4, first 2 shown]
	v_lshrrev_b32_e32 v43, 16, v36
	v_lshrrev_b32_e32 v40, 16, v33
	;; [unrolled: 1-line block ×5, first 2 shown]
	s_movk_i32 s6, 0x3b9c
	s_mov_b32 s3, 0xbb9c
	s_movk_i32 s5, 0x38b4
	s_mov_b32 s4, 0xb8b4
	s_movk_i32 s2, 0x34f2
	s_waitcnt vmcnt(0) lgkmcnt(0)
	s_barrier
	v_mul_f16_sdwa v48, v24, v46 dst_sel:DWORD dst_unused:UNUSED_PAD src0_sel:WORD_1 src1_sel:DWORD
	v_mul_f16_sdwa v49, v24, v16 dst_sel:DWORD dst_unused:UNUSED_PAD src0_sel:WORD_1 src1_sel:DWORD
	;; [unrolled: 1-line block ×6, first 2 shown]
	v_mul_f16_sdwa v58, v41, v29 dst_sel:DWORD dst_unused:UNUSED_PAD src0_sel:DWORD src1_sel:WORD_1
	v_fma_f16 v16, v24, v16, -v48
	v_fma_f16 v24, v24, v46, v49
	v_fma_f16 v12, v25, v12, -v50
	v_mul_f16_sdwa v49, v36, v31 dst_sel:DWORD dst_unused:UNUSED_PAD src0_sel:DWORD src1_sel:WORD_1
	v_fma_f16 v25, v25, v47, v51
	v_mul_f16_sdwa v47, v43, v31 dst_sel:DWORD dst_unused:UNUSED_PAD src0_sel:DWORD src1_sel:WORD_1
	v_mul_f16_sdwa v52, v26, v45 dst_sel:DWORD dst_unused:UNUSED_PAD src0_sel:WORD_1 src1_sel:DWORD
	v_mul_f16_sdwa v53, v26, v9 dst_sel:DWORD dst_unused:UNUSED_PAD src0_sel:WORD_1 src1_sel:DWORD
	;; [unrolled: 1-line block ×4, first 2 shown]
	v_mul_f16_sdwa v48, v34, v29 dst_sel:DWORD dst_unused:UNUSED_PAD src0_sel:DWORD src1_sel:WORD_1
	v_mul_f16_sdwa v50, v44, v11 dst_sel:DWORD dst_unused:UNUSED_PAD src0_sel:DWORD src1_sel:WORD_1
	v_fma_f16 v32, v27, v32, -v54
	v_fma_f16 v27, v27, v39, v55
	v_fma_f16 v34, v34, v29, -v58
	v_fma_f16 v39, v43, v31, v49
	v_fma_f16 v31, v36, v31, -v47
	v_mul_f16_sdwa v59, v42, v30 dst_sel:DWORD dst_unused:UNUSED_PAD src0_sel:DWORD src1_sel:WORD_1
	v_mul_f16_sdwa v46, v35, v30 dst_sel:DWORD dst_unused:UNUSED_PAD src0_sel:DWORD src1_sel:WORD_1
	v_fma_f16 v9, v26, v9, -v52
	v_fma_f16 v26, v26, v45, v53
	v_mul_f16_sdwa v45, v37, v11 dst_sel:DWORD dst_unused:UNUSED_PAD src0_sel:DWORD src1_sel:WORD_1
	v_fma_f16 v33, v28, v33, -v56
	v_fma_f16 v28, v28, v40, v57
	v_fma_f16 v29, v41, v29, v48
	v_fma_f16 v36, v37, v11, -v50
	v_sub_f16_e32 v37, v12, v32
	v_sub_f16_e32 v40, v31, v34
	v_add_f16_e32 v41, v32, v34
	v_fma_f16 v35, v35, v30, -v59
	v_fma_f16 v30, v42, v30, v46
	v_sub_f16_e32 v42, v25, v39
	v_add_f16_e32 v37, v37, v40
	v_fma_f16 v40, v41, -0.5, v38
	v_sub_f16_e32 v43, v27, v29
	v_fma_f16 v41, v42, s6, v40
	v_fma_f16 v40, v42, s3, v40
	v_fma_f16 v11, v44, v11, v45
	v_sub_f16_e32 v44, v32, v12
	v_sub_f16_e32 v45, v34, v31
	v_fma_f16 v41, v43, s5, v41
	v_fma_f16 v40, v43, s4, v40
	;; [unrolled: 1-line block ×4, first 2 shown]
	v_add_f16_e32 v40, v44, v45
	v_add_f16_e32 v44, v12, v31
	v_fma_f16 v44, v44, -0.5, v38
	v_fma_f16 v45, v43, s3, v44
	v_fma_f16 v43, v43, s6, v44
	;; [unrolled: 1-line block ×6, first 2 shown]
	v_add_f16_e32 v42, v38, v12
	v_add_f16_e32 v42, v42, v32
	v_add_f16_e32 v42, v42, v34
	v_add_f16_e32 v42, v42, v31
	v_sub_f16_e32 v12, v12, v31
	v_sub_f16_e32 v31, v32, v34
	;; [unrolled: 1-line block ×4, first 2 shown]
	v_add_f16_e32 v32, v32, v34
	v_lshrrev_b32_e32 v34, 16, v38
	v_add_f16_e32 v38, v27, v29
	v_fma_f16 v38, v38, -0.5, v34
	v_fma_f16 v44, v12, s3, v38
	v_fma_f16 v38, v12, s6, v38
	;; [unrolled: 1-line block ×6, first 2 shown]
	v_add_f16_e32 v38, v25, v39
	v_fma_f16 v38, v38, -0.5, v34
	v_add_f16_e32 v34, v34, v25
	v_add_f16_e32 v34, v34, v27
	v_sub_f16_e32 v25, v27, v25
	v_add_f16_e32 v27, v34, v29
	v_sub_f16_e32 v29, v29, v39
	v_add_f16_e32 v25, v25, v29
	v_fma_f16 v29, v31, s6, v38
	v_fma_f16 v31, v31, s3, v38
	v_fma_f16 v29, v12, s4, v29
	v_fma_f16 v12, v12, s5, v31
	v_fma_f16 v29, v25, s2, v29
	v_fma_f16 v31, v25, s2, v12
	v_sub_f16_e32 v12, v9, v33
	v_sub_f16_e32 v25, v36, v35
	v_add_f16_e32 v12, v12, v25
	v_add_f16_e32 v25, v33, v35
	v_fma_f16 v25, v25, -0.5, v16
	v_sub_f16_e32 v34, v26, v11
	v_add_f16_e32 v27, v27, v39
	v_fma_f16 v38, v34, s6, v25
	v_sub_f16_e32 v39, v28, v30
	v_fma_f16 v25, v34, s3, v25
	v_fma_f16 v38, v39, s5, v38
	;; [unrolled: 1-line block ×5, first 2 shown]
	v_sub_f16_e32 v12, v33, v9
	v_sub_f16_e32 v45, v35, v36
	v_add_f16_e32 v12, v12, v45
	v_add_f16_e32 v45, v9, v36
	v_fma_f16 v45, v45, -0.5, v16
	v_fma_f16 v46, v39, s3, v45
	v_fma_f16 v39, v39, s6, v45
	;; [unrolled: 1-line block ×6, first 2 shown]
	v_add_f16_e32 v12, v16, v9
	v_add_f16_e32 v12, v12, v33
	;; [unrolled: 1-line block ×4, first 2 shown]
	v_sub_f16_e32 v12, v33, v35
	v_sub_f16_e32 v33, v26, v28
	;; [unrolled: 1-line block ×3, first 2 shown]
	v_add_f16_e32 v33, v33, v35
	v_add_f16_e32 v35, v28, v30
	v_sub_f16_e32 v9, v9, v36
	v_fma_f16 v35, v35, -0.5, v24
	v_fma_f16 v36, v9, s3, v35
	v_fma_f16 v35, v9, s6, v35
	v_fma_f16 v36, v12, s4, v36
	v_fma_f16 v35, v12, s5, v35
	v_fma_f16 v36, v33, s2, v36
	v_fma_f16 v33, v33, s2, v35
	v_add_f16_e32 v35, v26, v11
	v_fma_f16 v35, v35, -0.5, v24
	v_add_f16_e32 v24, v24, v26
	v_add_f16_e32 v24, v24, v28
	;; [unrolled: 1-line block ×3, first 2 shown]
	v_sub_f16_e32 v26, v28, v26
	v_add_f16_e32 v28, v24, v11
	v_sub_f16_e32 v11, v30, v11
	v_fma_f16 v24, v12, s6, v35
	v_add_f16_e32 v11, v26, v11
	v_fma_f16 v12, v12, s3, v35
	v_fma_f16 v24, v9, s4, v24
	;; [unrolled: 1-line block ×5, first 2 shown]
	v_mul_f16_e32 v9, 0x3b9c, v24
	v_fma_f16 v9, v39, s2, v9
	v_mul_f16_e32 v11, 0x34f2, v34
	v_fma_f16 v30, v26, s6, -v11
	v_add_f16_e32 v35, v43, v9
	v_sub_f16_e32 v11, v43, v9
	v_mul_f16_e32 v9, 0x3a79, v25
	v_sub_f16_e32 v12, v40, v30
	v_add_f16_e32 v30, v40, v30
	v_fma_f16 v40, v33, s5, -v9
	v_sub_f16_e32 v9, v37, v40
	v_add_f16_e32 v37, v37, v40
	s_movk_i32 s5, 0x3a79
	v_mul_f16_e32 v40, 0x38b4, v36
	v_fma_f16 v40, v38, s5, v40
	v_mul_f16_e32 v38, 0xb8b4, v38
	v_fma_f16 v36, v36, s5, v38
	;; [unrolled: 2-line block ×3, first 2 shown]
	v_mul_f16_e32 v24, 0x34f2, v26
	v_fma_f16 v26, v34, s3, -v24
	v_mul_f16_e32 v24, 0x3a79, v33
	v_fma_f16 v33, v25, s4, -v24
	v_add_f16_e32 v34, v42, v16
	v_sub_f16_e32 v16, v42, v16
	v_add_f16_e32 v39, v41, v40
	v_sub_f16_e32 v24, v41, v40
	;; [unrolled: 2-line block ×7, first 2 shown]
	v_mov_b32_e32 v32, 2
	s_movk_i32 s2, 0x78
	v_lshlrev_b32_sdwa v15, v32, v15 dst_sel:DWORD dst_unused:UNUSED_PAD src0_sel:DWORD src1_sel:BYTE_0
	v_mad_u32_u24 v14, v14, s2, 0
	v_add3_u32 v14, v14, v15, v7
	v_pack_b32_f16 v15, v34, v40
	v_pack_b32_f16 v32, v39, v42
	ds_write2_b32 v14, v15, v32 offset1:3
	v_pack_b32_f16 v15, v35, v36
	v_pack_b32_f16 v29, v30, v29
	ds_write2_b32 v14, v15, v29 offset0:6 offset1:9
	v_pack_b32_f16 v15, v37, v31
	v_pack_b32_f16 v16, v16, v41
	ds_write2_b32 v14, v15, v16 offset0:12 offset1:15
	;; [unrolled: 3-line block ×4, first 2 shown]
	s_waitcnt lgkmcnt(0)
	s_barrier
	ds_read2_b32 v[15:16], v1 offset0:90 offset1:180
	ds_read2_b32 v[13:14], v13 offset0:14 offset1:104
	ds_read_b32 v31, v19
	ds_read_b32 v33, v1 offset:1800
	v_cmp_gt_u32_e64 s[2:3], 36, v0
	v_lshrrev_b32_e32 v32, 16, v18
	s_and_saveexec_b64 s[4:5], s[2:3]
	s_cbranch_execz .LBB0_17
; %bb.16:
	v_add_u32_e32 v9, 0x400, v1
	ds_read_b32 v24, v22
	ds_read2_b32 v[9:10], v9 offset0:68 offset1:158
	ds_read_b32 v32, v1 offset:2016
	ds_read2_b32 v[11:12], v1 offset0:144 offset1:234
	s_waitcnt lgkmcnt(3)
	v_lshrrev_b32_e32 v25, 16, v24
	s_waitcnt lgkmcnt(2)
	v_lshrrev_b32_e32 v26, 16, v9
	v_lshrrev_b32_e32 v18, 16, v10
	s_waitcnt lgkmcnt(1)
	v_lshrrev_b32_e32 v17, 16, v32
	s_waitcnt lgkmcnt(0)
	v_lshrrev_b32_e32 v27, 16, v11
	v_lshrrev_b32_e32 v28, 16, v12
.LBB0_17:
	s_or_b64 exec, exec, s[4:5]
	v_subrev_u32_e32 v29, 30, v0
	v_cmp_gt_u32_e64 s[4:5], 30, v0
	v_cndmask_b32_e64 v42, v29, v0, s[4:5]
	v_mul_i32_i24_e32 v29, 5, v42
	v_mov_b32_e32 v30, 0
	v_lshlrev_b64 v[29:30], 2, v[29:30]
	v_mov_b32_e32 v34, s9
	v_add_co_u32_e64 v29, s[4:5], s8, v29
	v_addc_co_u32_e64 v30, s[4:5], v34, v30, s[4:5]
	s_movk_i32 s4, 0x89
	global_load_dwordx4 v[34:37], v[29:30], off offset:108
	global_load_dword v43, v[29:30], off offset:124
	v_mul_lo_u16_sdwa v29, v6, s4 dst_sel:DWORD dst_unused:UNUSED_PAD src0_sel:BYTE_0 src1_sel:DWORD
	v_lshrrev_b16_e32 v29, 12, v29
	v_mul_lo_u16_e32 v30, 30, v29
	v_mov_b32_e32 v38, 5
	v_sub_u16_e32 v30, v6, v30
	v_mul_u32_u24_sdwa v38, v30, v38 dst_sel:DWORD dst_unused:UNUSED_PAD src0_sel:BYTE_0 src1_sel:DWORD
	v_lshlrev_b32_e32 v44, 2, v38
	global_load_dwordx4 v[38:41], v44, s[8:9] offset:108
	global_load_dword v45, v44, s[8:9] offset:124
	s_waitcnt lgkmcnt(3)
	v_lshrrev_b32_e32 v46, 16, v15
	v_lshrrev_b32_e32 v47, 16, v16
	s_waitcnt lgkmcnt(2)
	v_lshrrev_b32_e32 v48, 16, v13
	v_lshrrev_b32_e32 v49, 16, v14
	;; [unrolled: 3-line block ×3, first 2 shown]
	s_movk_i32 s5, 0x3aee
	s_mov_b32 s4, 0xbaee
	s_waitcnt vmcnt(0)
	s_barrier
	s_movk_i32 s6, 0x2d0
	v_mul_f16_sdwa v51, v34, v46 dst_sel:DWORD dst_unused:UNUSED_PAD src0_sel:WORD_1 src1_sel:DWORD
	v_mul_f16_sdwa v52, v34, v15 dst_sel:DWORD dst_unused:UNUSED_PAD src0_sel:WORD_1 src1_sel:DWORD
	;; [unrolled: 1-line block ×10, first 2 shown]
	v_fma_f16 v15, v34, v15, -v51
	v_fma_f16 v34, v34, v46, v52
	v_fma_f16 v16, v35, v16, -v53
	v_fma_f16 v35, v35, v47, v54
	;; [unrolled: 2-line block ×5, first 2 shown]
	v_mul_f16_sdwa v46, v27, v38 dst_sel:DWORD dst_unused:UNUSED_PAD src0_sel:DWORD src1_sel:WORD_1
	v_mul_f16_sdwa v47, v11, v38 dst_sel:DWORD dst_unused:UNUSED_PAD src0_sel:DWORD src1_sel:WORD_1
	;; [unrolled: 1-line block ×10, first 2 shown]
	v_fma_f16 v46, v11, v38, -v46
	v_fma_f16 v27, v27, v38, v47
	v_fma_f16 v38, v12, v39, -v48
	v_fma_f16 v28, v28, v39, v49
	;; [unrolled: 2-line block ×4, first 2 shown]
	v_add_f16_e32 v11, v31, v16
	v_add_f16_e32 v12, v16, v14
	v_sub_f16_e32 v17, v35, v37
	v_add_f16_e32 v40, v44, v35
	v_add_f16_e32 v35, v35, v37
	v_add_f16_e32 v45, v13, v33
	v_fma_f16 v10, v10, v41, -v52
	v_fma_f16 v18, v18, v41, v53
	v_sub_f16_e32 v16, v16, v14
	v_add_f16_e32 v41, v15, v13
	v_sub_f16_e32 v47, v36, v43
	v_add_f16_e32 v11, v11, v14
	v_fma_f16 v12, v12, -0.5, v31
	v_add_f16_e32 v14, v40, v37
	v_fma_f16 v31, v35, -0.5, v44
	v_fma_f16 v15, v45, -0.5, v15
	v_add_f16_e32 v40, v34, v36
	v_add_f16_e32 v36, v36, v43
	v_fma_f16 v37, v17, s5, v12
	v_fma_f16 v12, v17, s4, v12
	;; [unrolled: 1-line block ×6, first 2 shown]
	v_fma_f16 v34, v36, -0.5, v34
	v_sub_f16_e32 v13, v13, v33
	v_add_f16_e32 v35, v41, v33
	v_add_f16_e32 v40, v40, v43
	v_fma_f16 v33, v13, s4, v34
	v_fma_f16 v13, v13, s5, v34
	v_mul_f16_e32 v43, -0.5, v15
	v_mul_f16_e32 v36, 0x3aee, v33
	v_fma_f16 v43, v13, s5, v43
	v_mul_f16_e32 v13, -0.5, v13
	v_add_f16_e32 v34, v11, v35
	v_fma_f16 v36, v31, 0.5, v36
	v_mul_f16_e32 v31, 0xbaee, v31
	v_fma_f16 v13, v15, s4, v13
	v_sub_f16_e32 v35, v11, v35
	v_add_f16_e32 v11, v24, v38
	v_add_f16_e32 v15, v28, v18
	;; [unrolled: 1-line block ×4, first 2 shown]
	v_fma_f16 v31, v33, 0.5, v31
	v_sub_f16_e32 v36, v37, v36
	v_sub_f16_e32 v37, v12, v43
	v_add_f16_e32 v11, v11, v10
	v_add_f16_e32 v12, v38, v10
	v_fma_f16 v15, v15, -0.5, v25
	v_sub_f16_e32 v10, v38, v10
	v_add_f16_e32 v45, v14, v40
	v_add_f16_e32 v47, v17, v31
	;; [unrolled: 1-line block ×3, first 2 shown]
	v_sub_f16_e32 v40, v14, v40
	v_sub_f16_e32 v43, v17, v31
	;; [unrolled: 1-line block ×3, first 2 shown]
	v_fma_f16 v13, v12, -0.5, v24
	v_sub_f16_e32 v14, v28, v18
	v_fma_f16 v16, v10, s4, v15
	v_fma_f16 v17, v10, s5, v15
	v_add_f16_e32 v10, v46, v9
	v_fma_f16 v12, v14, s5, v13
	v_fma_f16 v13, v14, s4, v13
	v_add_f16_e32 v14, v25, v28
	v_add_f16_e32 v15, v10, v32
	;; [unrolled: 1-line block ×5, first 2 shown]
	v_fma_f16 v10, v10, -0.5, v46
	v_sub_f16_e32 v18, v26, v39
	v_fma_f16 v25, v25, -0.5, v27
	v_sub_f16_e32 v9, v9, v32
	v_fma_f16 v24, v18, s5, v10
	v_fma_f16 v10, v18, s4, v10
	v_add_f16_e32 v18, v27, v26
	v_fma_f16 v26, v9, s4, v25
	v_fma_f16 v9, v9, s5, v25
	v_mul_f16_e32 v25, 0x3aee, v26
	v_fma_f16 v28, v24, 0.5, v25
	v_mul_f16_e32 v25, -0.5, v10
	v_fma_f16 v31, v9, s5, v25
	v_mul_f16_e32 v9, -0.5, v9
	v_fma_f16 v33, v10, s4, v9
	v_mov_b32_e32 v38, 0x2d0
	v_cmp_lt_u32_e64 s[4:5], 29, v0
	v_cndmask_b32_e64 v38, 0, v38, s[4:5]
	v_add_f16_e32 v18, v18, v39
	v_add_u32_e32 v38, 0, v38
	v_lshlrev_b32_e32 v39, 2, v42
	v_mul_f16_e32 v24, 0xbaee, v24
	v_add3_u32 v38, v38, v39, v7
	v_pack_b32_f16 v34, v34, v45
	v_pack_b32_f16 v39, v41, v47
	v_fma_f16 v32, v26, 0.5, v24
	ds_write2_b32 v38, v34, v39 offset1:30
	v_pack_b32_f16 v34, v44, v48
	v_pack_b32_f16 v35, v35, v40
	v_sub_f16_e32 v24, v11, v15
	v_sub_f16_e32 v9, v12, v28
	;; [unrolled: 1-line block ×6, first 2 shown]
	ds_write2_b32 v38, v34, v35 offset0:60 offset1:90
	v_pack_b32_f16 v34, v36, v43
	v_pack_b32_f16 v35, v37, v49
	ds_write2_b32 v38, v34, v35 offset0:120 offset1:150
	s_and_saveexec_b64 s[4:5], s[2:3]
	s_cbranch_execz .LBB0_19
; %bb.18:
	v_add_f16_e32 v14, v14, v18
	v_mov_b32_e32 v18, 2
	v_add_f16_e32 v16, v16, v32
	v_add_f16_e32 v12, v12, v28
	;; [unrolled: 1-line block ×3, first 2 shown]
	v_mad_u32_u24 v15, v29, s6, 0
	v_lshlrev_b32_sdwa v18, v18, v30 dst_sel:DWORD dst_unused:UNUSED_PAD src0_sel:DWORD src1_sel:BYTE_0
	v_add_f16_e32 v17, v17, v33
	v_add_f16_e32 v13, v13, v31
	v_add3_u32 v7, v15, v18, v7
	v_pack_b32_f16 v11, v11, v14
	v_pack_b32_f16 v12, v12, v16
	s_mov_b32 s2, 0x5040100
	ds_write2_b32 v7, v11, v12 offset1:30
	v_pack_b32_f16 v11, v13, v17
	v_perm_b32 v12, v25, v24, s2
	ds_write2_b32 v7, v11, v12 offset0:60 offset1:90
	v_perm_b32 v11, v27, v9, s2
	v_perm_b32 v12, v26, v10, s2
	ds_write2_b32 v7, v11, v12 offset0:120 offset1:150
.LBB0_19:
	s_or_b64 exec, exec, s[4:5]
	v_add_u32_e32 v7, 0x400, v1
	s_waitcnt lgkmcnt(0)
	s_barrier
	ds_read2_b32 v[17:18], v1 offset0:180 offset1:234
	ds_read2_b32 v[13:14], v7 offset0:32 offset1:104
	;; [unrolled: 1-line block ×3, first 2 shown]
	ds_read_b32 v29, v19
	ds_read_b32 v28, v22
	;; [unrolled: 1-line block ×3, first 2 shown]
	s_and_saveexec_b64 s[2:3], s[0:1]
	s_cbranch_execz .LBB0_21
; %bb.20:
	v_add_u32_e32 v9, 0x500, v1
	ds_read_b32 v24, v23
	ds_read2_b32 v[9:10], v9 offset0:22 offset1:202
	s_waitcnt lgkmcnt(1)
	v_lshrrev_b32_e32 v25, 16, v24
	s_waitcnt lgkmcnt(0)
	v_lshrrev_b32_e32 v26, 16, v10
	v_lshrrev_b32_e32 v27, 16, v9
.LBB0_21:
	s_or_b64 exec, exec, s[2:3]
	v_lshlrev_b32_e32 v11, 1, v0
	v_mov_b32_e32 v12, 0
	v_lshlrev_b64 v[30:31], 2, v[11:12]
	v_lshlrev_b32_e32 v11, 1, v6
	v_mov_b32_e32 v23, s9
	v_add_co_u32_e64 v30, s[2:3], s8, v30
	v_lshlrev_b64 v[32:33], 2, v[11:12]
	v_addc_co_u32_e64 v31, s[2:3], v23, v31, s[2:3]
	v_lshlrev_b32_e32 v11, 1, v8
	v_add_co_u32_e64 v32, s[2:3], s8, v32
	v_lshlrev_b64 v[34:35], 2, v[11:12]
	v_addc_co_u32_e64 v33, s[2:3], v23, v33, s[2:3]
	global_load_dwordx2 v[30:31], v[30:31], off offset:708
	v_add_co_u32_e64 v34, s[2:3], s8, v34
	global_load_dwordx2 v[32:33], v[32:33], off offset:708
	v_addc_co_u32_e64 v35, s[2:3], v23, v35, s[2:3]
	global_load_dwordx2 v[34:35], v[34:35], off offset:708
	s_waitcnt lgkmcnt(4)
	v_lshrrev_b32_e32 v41, 16, v14
	v_lshrrev_b32_e32 v42, 16, v17
	s_waitcnt lgkmcnt(3)
	v_lshrrev_b32_e32 v39, 16, v15
	v_lshrrev_b32_e32 v40, 16, v18
	;; [unrolled: 3-line block ×3, first 2 shown]
	v_lshrrev_b32_e32 v38, 16, v13
	s_waitcnt lgkmcnt(1)
	v_lshrrev_b32_e32 v23, 16, v28
	s_movk_i32 s4, 0x3aee
	s_mov_b32 s5, 0xbaee
	s_waitcnt lgkmcnt(0)
	v_lshrrev_b32_e32 v36, 16, v7
	s_waitcnt vmcnt(0)
	s_barrier
	v_mul_f16_sdwa v43, v30, v42 dst_sel:DWORD dst_unused:UNUSED_PAD src0_sel:WORD_1 src1_sel:DWORD
	v_mul_f16_sdwa v44, v30, v17 dst_sel:DWORD dst_unused:UNUSED_PAD src0_sel:WORD_1 src1_sel:DWORD
	;; [unrolled: 1-line block ×4, first 2 shown]
	v_fma_f16 v17, v30, v17, -v43
	v_fma_f16 v30, v30, v42, v44
	v_fma_f16 v14, v31, v14, -v45
	v_fma_f16 v31, v31, v41, v46
	v_mul_f16_sdwa v41, v32, v40 dst_sel:DWORD dst_unused:UNUSED_PAD src0_sel:WORD_1 src1_sel:DWORD
	v_mul_f16_sdwa v42, v32, v18 dst_sel:DWORD dst_unused:UNUSED_PAD src0_sel:WORD_1 src1_sel:DWORD
	;; [unrolled: 1-line block ×4, first 2 shown]
	v_fma_f16 v18, v32, v18, -v41
	v_fma_f16 v32, v32, v40, v42
	v_fma_f16 v15, v33, v15, -v43
	v_fma_f16 v33, v33, v39, v44
	v_mul_f16_sdwa v39, v34, v38 dst_sel:DWORD dst_unused:UNUSED_PAD src0_sel:WORD_1 src1_sel:DWORD
	v_mul_f16_sdwa v40, v34, v13 dst_sel:DWORD dst_unused:UNUSED_PAD src0_sel:WORD_1 src1_sel:DWORD
	;; [unrolled: 1-line block ×3, first 2 shown]
	v_sub_f16_e32 v45, v30, v31
	v_add_f16_e32 v46, v11, v30
	v_add_f16_e32 v30, v30, v31
	v_mul_f16_sdwa v42, v35, v16 dst_sel:DWORD dst_unused:UNUSED_PAD src0_sel:WORD_1 src1_sel:DWORD
	v_add_f16_e32 v44, v17, v14
	v_fma_f16 v13, v34, v13, -v39
	v_fma_f16 v34, v34, v38, v40
	v_fma_f16 v16, v35, v16, -v41
	v_fma_f16 v11, v30, -0.5, v11
	v_add_f16_e32 v30, v28, v18
	v_sub_f16_e32 v38, v32, v33
	v_add_f16_e32 v39, v23, v32
	v_add_f16_e32 v32, v32, v33
	;; [unrolled: 1-line block ×3, first 2 shown]
	v_sub_f16_e32 v17, v17, v14
	v_fma_f16 v35, v35, v37, v42
	v_fma_f16 v29, v44, -0.5, v29
	v_add_f16_e32 v37, v18, v15
	v_sub_f16_e32 v18, v18, v15
	v_add_f16_e32 v15, v30, v15
	v_fma_f16 v23, v32, -0.5, v23
	v_add_f16_e32 v30, v7, v13
	v_add_f16_e32 v32, v13, v16
	;; [unrolled: 1-line block ×4, first 2 shown]
	v_fma_f16 v40, v45, s4, v29
	v_fma_f16 v29, v45, s5, v29
	;; [unrolled: 1-line block ×4, first 2 shown]
	v_fma_f16 v17, v37, -0.5, v28
	v_fma_f16 v37, v18, s5, v23
	v_fma_f16 v18, v18, s4, v23
	v_add_f16_e32 v23, v30, v16
	v_fma_f16 v7, v32, -0.5, v7
	v_sub_f16_e32 v30, v34, v35
	v_add_f16_e32 v28, v39, v33
	v_fma_f16 v33, v38, s4, v17
	v_fma_f16 v32, v30, s4, v7
	;; [unrolled: 1-line block ×3, first 2 shown]
	v_add_f16_e32 v30, v36, v34
	v_add_f16_e32 v34, v34, v35
	v_pack_b32_f16 v14, v14, v31
	v_pack_b32_f16 v31, v40, v41
	;; [unrolled: 1-line block ×3, first 2 shown]
	v_fma_f16 v17, v38, s5, v17
	v_fma_f16 v34, v34, -0.5, v36
	v_sub_f16_e32 v13, v13, v16
	ds_write2_b32 v1, v14, v31 offset1:180
	ds_write_b32 v1, v11 offset:1440
	v_pack_b32_f16 v11, v15, v28
	v_pack_b32_f16 v14, v33, v37
	v_add_f16_e32 v30, v30, v35
	v_fma_f16 v16, v13, s5, v34
	v_fma_f16 v13, v13, s4, v34
	ds_write2_b32 v22, v11, v14 offset1:180
	v_pack_b32_f16 v11, v17, v18
	ds_write_b32 v22, v11 offset:1440
	v_pack_b32_f16 v11, v23, v30
	v_pack_b32_f16 v14, v32, v16
	;; [unrolled: 1-line block ×3, first 2 shown]
	ds_write2_b32 v21, v11, v14 offset1:180
	ds_write_b32 v21, v7 offset:1440
	s_and_saveexec_b64 s[2:3], s[0:1]
	s_cbranch_execz .LBB0_23
; %bb.22:
	v_subrev_u32_e32 v7, 18, v0
	v_cndmask_b32_e64 v7, v7, v4, s[0:1]
	v_lshlrev_b32_e32 v11, 1, v7
	v_lshlrev_b64 v[11:12], 2, v[11:12]
	v_mov_b32_e32 v7, s9
	v_add_co_u32_e64 v11, s[0:1], s8, v11
	v_addc_co_u32_e64 v12, s[0:1], v7, v12, s[0:1]
	global_load_dwordx2 v[11:12], v[11:12], off offset:708
	v_add_u32_e32 v7, 0x200, v1
	s_waitcnt vmcnt(0)
	v_mul_f16_sdwa v13, v27, v11 dst_sel:DWORD dst_unused:UNUSED_PAD src0_sel:DWORD src1_sel:WORD_1
	v_mul_f16_sdwa v14, v26, v12 dst_sel:DWORD dst_unused:UNUSED_PAD src0_sel:DWORD src1_sel:WORD_1
	;; [unrolled: 1-line block ×4, first 2 shown]
	v_fma_f16 v9, v9, v11, -v13
	v_fma_f16 v10, v10, v12, -v14
	v_fma_f16 v11, v27, v11, v15
	v_fma_f16 v12, v26, v12, v16
	v_add_f16_e32 v14, v11, v12
	v_add_f16_e32 v15, v25, v11
	;; [unrolled: 1-line block ×3, first 2 shown]
	v_sub_f16_e32 v13, v9, v10
	v_sub_f16_e32 v11, v11, v12
	v_add_f16_e32 v9, v24, v9
	v_fma_f16 v14, v14, -0.5, v25
	v_add_f16_e32 v12, v15, v12
	v_fma_f16 v15, v16, -0.5, v24
	v_add_f16_e32 v9, v9, v10
	v_fma_f16 v10, v13, s4, v14
	v_fma_f16 v13, v13, s5, v14
	v_fma_f16 v14, v11, s5, v15
	v_fma_f16 v11, v11, s4, v15
	v_pack_b32_f16 v9, v9, v12
	v_pack_b32_f16 v11, v11, v13
	;; [unrolled: 1-line block ×3, first 2 shown]
	ds_write2_b32 v7, v9, v11 offset0:34 offset1:214
	ds_write_b32 v1, v10 offset:2088
.LBB0_23:
	s_or_b64 exec, exec, s[2:3]
	s_waitcnt lgkmcnt(0)
	s_barrier
	ds_read_b32 v7, v19
	v_sub_u32_e32 v12, v20, v5
	v_cmp_ne_u32_e64 s[0:1], 0, v0
                                        ; implicit-def: $vgpr14
                                        ; implicit-def: $vgpr13
                                        ; implicit-def: $vgpr10_vgpr11
	s_and_saveexec_b64 s[2:3], s[0:1]
	s_xor_b64 s[2:3], exec, s[2:3]
	s_cbranch_execz .LBB0_25
; %bb.24:
	v_mov_b32_e32 v1, 0
	v_lshlrev_b64 v[9:10], 2, v[0:1]
	v_mov_b32_e32 v5, s9
	v_add_co_u32_e64 v9, s[0:1], s8, v9
	v_addc_co_u32_e64 v10, s[0:1], v5, v10, s[0:1]
	global_load_dword v5, v[9:10], off offset:2148
	ds_read_b32 v9, v12 offset:2160
	s_waitcnt lgkmcnt(0)
	v_add_f16_sdwa v11, v9, v7 dst_sel:DWORD dst_unused:UNUSED_PAD src0_sel:WORD_1 src1_sel:WORD_1
	v_sub_f16_e32 v13, v7, v9
	v_add_f16_e32 v10, v9, v7
	v_sub_f16_sdwa v7, v7, v9 dst_sel:DWORD dst_unused:UNUSED_PAD src0_sel:WORD_1 src1_sel:WORD_1
	v_mul_f16_e32 v9, 0.5, v11
	v_mul_f16_e32 v11, 0.5, v13
	v_mul_f16_e32 v7, 0.5, v7
	s_waitcnt vmcnt(0)
	v_lshrrev_b32_e32 v13, 16, v5
	v_mul_f16_e32 v14, v13, v11
	v_fma_f16 v15, v9, v13, v7
	v_fma_f16 v7, v9, v13, -v7
	v_fma_f16 v13, v10, 0.5, v14
	v_fma_f16 v10, v10, 0.5, -v14
	v_fma_f16 v15, -v5, v11, v15
	v_fma_f16 v7, -v5, v11, v7
	;; [unrolled: 1-line block ×3, first 2 shown]
	v_mov_b32_e32 v11, v1
	v_fma_f16 v13, v5, v9, v13
	ds_write_b16 v19, v15 offset:2
	ds_write_b16 v12, v7 offset:2162
	v_mov_b32_e32 v10, v0
                                        ; implicit-def: $vgpr7
.LBB0_25:
	s_andn2_saveexec_b64 s[0:1], s[2:3]
	s_cbranch_execz .LBB0_27
; %bb.26:
	v_mov_b32_e32 v1, 0
	ds_write_b16 v19, v1 offset:2
	ds_write_b16 v12, v1 offset:2162
	ds_read_u16 v1, v20 offset:1082
	v_mov_b32_e32 v10, 0
	s_waitcnt lgkmcnt(3)
	v_add_f16_sdwa v13, v7, v7 dst_sel:DWORD dst_unused:UNUSED_PAD src0_sel:WORD_1 src1_sel:DWORD
	v_sub_f16_sdwa v14, v7, v7 dst_sel:DWORD dst_unused:UNUSED_PAD src0_sel:DWORD src1_sel:WORD_1
	v_mov_b32_e32 v11, 0
	s_waitcnt lgkmcnt(0)
	v_xor_b32_e32 v1, 0x8000, v1
	ds_write_b16 v20, v1 offset:1082
.LBB0_27:
	s_or_b64 exec, exec, s[0:1]
	s_waitcnt lgkmcnt(0)
	v_mov_b32_e32 v7, 0
	v_lshlrev_b64 v[15:16], 2, v[6:7]
	v_mov_b32_e32 v1, s9
	v_add_co_u32_e64 v15, s[0:1], s8, v15
	v_addc_co_u32_e64 v16, s[0:1], v1, v16, s[0:1]
	global_load_dword v1, v[15:16], off offset:2148
	v_mov_b32_e32 v9, v7
	v_lshlrev_b64 v[15:16], 2, v[8:9]
	v_mov_b32_e32 v5, s9
	v_add_co_u32_e64 v15, s[0:1], s8, v15
	v_addc_co_u32_e64 v16, s[0:1], v5, v16, s[0:1]
	global_load_dword v17, v[15:16], off offset:2148
	;; [unrolled: 6-line block ×3, first 2 shown]
	s_add_u32 s0, s8, 0x864
	ds_write_b16 v19, v13
	ds_write_b16 v12, v14 offset:2160
	v_lshl_add_u32 v13, v6, 2, v20
	v_lshlrev_b64 v[5:6], 2, v[10:11]
	s_addc_u32 s1, s9, 0
	v_mov_b32_e32 v10, s1
	v_add_co_u32_e64 v9, s[0:1], s0, v5
	v_addc_co_u32_e64 v10, s[0:1], v10, v6, s[0:1]
	ds_read_b32 v11, v13
	ds_read_b32 v14, v12 offset:1944
	global_load_dword v9, v[9:10], off offset:864
	s_mov_b32 s2, 0xffff
	v_lshl_add_u32 v8, v8, 2, v20
	v_lshl_add_u32 v4, v4, 2, v20
	s_waitcnt lgkmcnt(0)
	v_pk_add_f16 v10, v11, v14 neg_lo:[0,1] neg_hi:[0,1]
	v_pk_add_f16 v11, v11, v14
	v_bfi_b32 v14, s2, v10, v11
	v_bfi_b32 v10, s2, v11, v10
	v_pk_mul_f16 v11, v14, 0.5 op_sel_hi:[1,0]
	v_pk_mul_f16 v10, v10, 0.5 op_sel_hi:[1,0]
	s_waitcnt vmcnt(3)
	v_pk_fma_f16 v14, v1, v11, v10 op_sel:[1,0,0]
	v_pk_mul_f16 v15, v1, v11 op_sel_hi:[0,1]
	v_pk_fma_f16 v16, v1, v11, v10 op_sel:[1,0,0] neg_lo:[1,0,0] neg_hi:[1,0,0]
	v_pk_fma_f16 v1, v1, v11, v10 op_sel:[1,0,0] neg_lo:[0,0,1] neg_hi:[0,0,1]
	v_pk_add_f16 v10, v14, v15 op_sel:[0,1] op_sel_hi:[1,0]
	v_pk_add_f16 v11, v14, v15 op_sel:[0,1] op_sel_hi:[1,0] neg_lo:[0,1] neg_hi:[0,1]
	v_pk_add_f16 v14, v16, v15 op_sel:[0,1] op_sel_hi:[1,0] neg_lo:[0,1] neg_hi:[0,1]
	;; [unrolled: 1-line block ×3, first 2 shown]
	v_bfi_b32 v10, s2, v10, v11
	v_bfi_b32 v1, s2, v14, v1
	ds_write_b32 v13, v10
	ds_write_b32 v12, v1 offset:1944
	ds_read_b32 v1, v8
	ds_read_b32 v10, v12 offset:1728
	s_waitcnt lgkmcnt(0)
	v_pk_add_f16 v11, v1, v10 neg_lo:[0,1] neg_hi:[0,1]
	v_pk_add_f16 v1, v1, v10
	v_bfi_b32 v10, s2, v11, v1
	v_bfi_b32 v1, s2, v1, v11
	v_pk_mul_f16 v10, v10, 0.5 op_sel_hi:[1,0]
	v_pk_mul_f16 v1, v1, 0.5 op_sel_hi:[1,0]
	s_waitcnt vmcnt(2)
	v_pk_fma_f16 v11, v17, v10, v1 op_sel:[1,0,0]
	v_pk_mul_f16 v13, v17, v10 op_sel_hi:[0,1]
	v_pk_fma_f16 v14, v17, v10, v1 op_sel:[1,0,0] neg_lo:[1,0,0] neg_hi:[1,0,0]
	v_pk_fma_f16 v1, v17, v10, v1 op_sel:[1,0,0] neg_lo:[0,0,1] neg_hi:[0,0,1]
	v_pk_add_f16 v10, v11, v13 op_sel:[0,1] op_sel_hi:[1,0]
	v_pk_add_f16 v11, v11, v13 op_sel:[0,1] op_sel_hi:[1,0] neg_lo:[0,1] neg_hi:[0,1]
	v_pk_add_f16 v14, v14, v13 op_sel:[0,1] op_sel_hi:[1,0] neg_lo:[0,1] neg_hi:[0,1]
	;; [unrolled: 1-line block ×3, first 2 shown]
	v_bfi_b32 v10, s2, v10, v11
	v_bfi_b32 v1, s2, v14, v1
	ds_write_b32 v8, v10
	ds_write_b32 v12, v1 offset:1728
	ds_read_b32 v1, v4
	ds_read_b32 v8, v12 offset:1512
	s_waitcnt lgkmcnt(0)
	v_pk_add_f16 v10, v1, v8 neg_lo:[0,1] neg_hi:[0,1]
	v_pk_add_f16 v1, v1, v8
	v_bfi_b32 v8, s2, v10, v1
	v_bfi_b32 v1, s2, v1, v10
	v_pk_mul_f16 v8, v8, 0.5 op_sel_hi:[1,0]
	v_pk_mul_f16 v1, v1, 0.5 op_sel_hi:[1,0]
	s_waitcnt vmcnt(1)
	v_pk_fma_f16 v10, v7, v8, v1 op_sel:[1,0,0]
	v_pk_mul_f16 v11, v7, v8 op_sel_hi:[0,1]
	v_pk_fma_f16 v13, v7, v8, v1 op_sel:[1,0,0] neg_lo:[1,0,0] neg_hi:[1,0,0]
	v_pk_fma_f16 v1, v7, v8, v1 op_sel:[1,0,0] neg_lo:[0,0,1] neg_hi:[0,0,1]
	v_pk_add_f16 v7, v10, v11 op_sel:[0,1] op_sel_hi:[1,0]
	v_pk_add_f16 v8, v10, v11 op_sel:[0,1] op_sel_hi:[1,0] neg_lo:[0,1] neg_hi:[0,1]
	v_pk_add_f16 v10, v13, v11 op_sel:[0,1] op_sel_hi:[1,0] neg_lo:[0,1] neg_hi:[0,1]
	;; [unrolled: 1-line block ×3, first 2 shown]
	v_bfi_b32 v7, s2, v7, v8
	v_bfi_b32 v1, s2, v10, v1
	ds_write_b32 v4, v7
	ds_write_b32 v12, v1 offset:1512
	ds_read_b32 v1, v19 offset:864
	ds_read_b32 v4, v12 offset:1296
	s_waitcnt lgkmcnt(0)
	v_pk_add_f16 v7, v1, v4 neg_lo:[0,1] neg_hi:[0,1]
	v_pk_add_f16 v1, v1, v4
	v_bfi_b32 v4, s2, v7, v1
	v_bfi_b32 v1, s2, v1, v7
	v_pk_mul_f16 v4, v4, 0.5 op_sel_hi:[1,0]
	v_pk_mul_f16 v1, v1, 0.5 op_sel_hi:[1,0]
	s_waitcnt vmcnt(0)
	v_pk_fma_f16 v7, v9, v4, v1 op_sel:[1,0,0]
	v_pk_mul_f16 v8, v9, v4 op_sel_hi:[0,1]
	v_pk_fma_f16 v10, v9, v4, v1 op_sel:[1,0,0] neg_lo:[1,0,0] neg_hi:[1,0,0]
	v_pk_fma_f16 v1, v9, v4, v1 op_sel:[1,0,0] neg_lo:[0,0,1] neg_hi:[0,0,1]
	v_pk_add_f16 v4, v7, v8 op_sel:[0,1] op_sel_hi:[1,0]
	v_pk_add_f16 v7, v7, v8 op_sel:[0,1] op_sel_hi:[1,0] neg_lo:[0,1] neg_hi:[0,1]
	v_pk_add_f16 v9, v10, v8 op_sel:[0,1] op_sel_hi:[1,0] neg_lo:[0,1] neg_hi:[0,1]
	;; [unrolled: 1-line block ×3, first 2 shown]
	v_bfi_b32 v4, s2, v4, v7
	v_bfi_b32 v1, s2, v9, v1
	ds_write_b32 v19, v4 offset:864
	ds_write_b32 v12, v1 offset:1296
	s_waitcnt lgkmcnt(0)
	s_barrier
	s_and_saveexec_b64 s[0:1], vcc
	s_cbranch_execz .LBB0_30
; %bb.28:
	ds_read2_b32 v[7:8], v19 offset1:54
	v_mov_b32_e32 v4, s13
	v_add_co_u32_e32 v1, vcc, s12, v2
	v_addc_co_u32_e32 v2, vcc, v4, v3, vcc
	ds_read2_b32 v[3:4], v19 offset0:108 offset1:162
	v_add_co_u32_e32 v5, vcc, v1, v5
	v_addc_co_u32_e32 v6, vcc, v2, v6, vcc
	s_waitcnt lgkmcnt(1)
	global_store_dword v[5:6], v7, off
	global_store_dword v[5:6], v8, off offset:216
	s_waitcnt lgkmcnt(0)
	global_store_dword v[5:6], v3, off offset:432
	v_add_u32_e32 v3, 0x200, v19
	ds_read2_b32 v[7:8], v3 offset0:88 offset1:142
	v_add_u32_e32 v3, 0x400, v19
	ds_read2_b32 v[9:10], v3 offset0:68 offset1:122
	global_store_dword v[5:6], v4, off offset:648
	ds_read2_b32 v[3:4], v3 offset0:176 offset1:230
	v_cmp_eq_u32_e32 vcc, 53, v0
	s_waitcnt lgkmcnt(2)
	global_store_dword v[5:6], v7, off offset:864
	global_store_dword v[5:6], v8, off offset:1080
	s_waitcnt lgkmcnt(1)
	global_store_dword v[5:6], v9, off offset:1296
	global_store_dword v[5:6], v10, off offset:1512
	;; [unrolled: 3-line block ×3, first 2 shown]
	s_and_b64 exec, exec, vcc
	s_cbranch_execz .LBB0_30
; %bb.29:
	ds_read_b32 v0, v19 offset:1948
	s_waitcnt lgkmcnt(0)
	global_store_dword v[1:2], v0, off offset:2160
.LBB0_30:
	s_endpgm
	.section	.rodata,"a",@progbits
	.p2align	6, 0x0
	.amdhsa_kernel fft_rtc_fwd_len540_factors_3_10_6_3_wgs_216_tpt_54_halfLds_half_ip_CI_unitstride_sbrr_R2C_dirReg
		.amdhsa_group_segment_fixed_size 0
		.amdhsa_private_segment_fixed_size 0
		.amdhsa_kernarg_size 88
		.amdhsa_user_sgpr_count 6
		.amdhsa_user_sgpr_private_segment_buffer 1
		.amdhsa_user_sgpr_dispatch_ptr 0
		.amdhsa_user_sgpr_queue_ptr 0
		.amdhsa_user_sgpr_kernarg_segment_ptr 1
		.amdhsa_user_sgpr_dispatch_id 0
		.amdhsa_user_sgpr_flat_scratch_init 0
		.amdhsa_user_sgpr_private_segment_size 0
		.amdhsa_uses_dynamic_stack 0
		.amdhsa_system_sgpr_private_segment_wavefront_offset 0
		.amdhsa_system_sgpr_workgroup_id_x 1
		.amdhsa_system_sgpr_workgroup_id_y 0
		.amdhsa_system_sgpr_workgroup_id_z 0
		.amdhsa_system_sgpr_workgroup_info 0
		.amdhsa_system_vgpr_workitem_id 0
		.amdhsa_next_free_vgpr 61
		.amdhsa_next_free_sgpr 22
		.amdhsa_reserve_vcc 1
		.amdhsa_reserve_flat_scratch 0
		.amdhsa_float_round_mode_32 0
		.amdhsa_float_round_mode_16_64 0
		.amdhsa_float_denorm_mode_32 3
		.amdhsa_float_denorm_mode_16_64 3
		.amdhsa_dx10_clamp 1
		.amdhsa_ieee_mode 1
		.amdhsa_fp16_overflow 0
		.amdhsa_exception_fp_ieee_invalid_op 0
		.amdhsa_exception_fp_denorm_src 0
		.amdhsa_exception_fp_ieee_div_zero 0
		.amdhsa_exception_fp_ieee_overflow 0
		.amdhsa_exception_fp_ieee_underflow 0
		.amdhsa_exception_fp_ieee_inexact 0
		.amdhsa_exception_int_div_zero 0
	.end_amdhsa_kernel
	.text
.Lfunc_end0:
	.size	fft_rtc_fwd_len540_factors_3_10_6_3_wgs_216_tpt_54_halfLds_half_ip_CI_unitstride_sbrr_R2C_dirReg, .Lfunc_end0-fft_rtc_fwd_len540_factors_3_10_6_3_wgs_216_tpt_54_halfLds_half_ip_CI_unitstride_sbrr_R2C_dirReg
                                        ; -- End function
	.section	.AMDGPU.csdata,"",@progbits
; Kernel info:
; codeLenInByte = 7556
; NumSgprs: 26
; NumVgprs: 61
; ScratchSize: 0
; MemoryBound: 0
; FloatMode: 240
; IeeeMode: 1
; LDSByteSize: 0 bytes/workgroup (compile time only)
; SGPRBlocks: 3
; VGPRBlocks: 15
; NumSGPRsForWavesPerEU: 26
; NumVGPRsForWavesPerEU: 61
; Occupancy: 4
; WaveLimiterHint : 1
; COMPUTE_PGM_RSRC2:SCRATCH_EN: 0
; COMPUTE_PGM_RSRC2:USER_SGPR: 6
; COMPUTE_PGM_RSRC2:TRAP_HANDLER: 0
; COMPUTE_PGM_RSRC2:TGID_X_EN: 1
; COMPUTE_PGM_RSRC2:TGID_Y_EN: 0
; COMPUTE_PGM_RSRC2:TGID_Z_EN: 0
; COMPUTE_PGM_RSRC2:TIDIG_COMP_CNT: 0
	.type	__hip_cuid_311625b183280647,@object ; @__hip_cuid_311625b183280647
	.section	.bss,"aw",@nobits
	.globl	__hip_cuid_311625b183280647
__hip_cuid_311625b183280647:
	.byte	0                               ; 0x0
	.size	__hip_cuid_311625b183280647, 1

	.ident	"AMD clang version 19.0.0git (https://github.com/RadeonOpenCompute/llvm-project roc-6.4.0 25133 c7fe45cf4b819c5991fe208aaa96edf142730f1d)"
	.section	".note.GNU-stack","",@progbits
	.addrsig
	.addrsig_sym __hip_cuid_311625b183280647
	.amdgpu_metadata
---
amdhsa.kernels:
  - .args:
      - .actual_access:  read_only
        .address_space:  global
        .offset:         0
        .size:           8
        .value_kind:     global_buffer
      - .offset:         8
        .size:           8
        .value_kind:     by_value
      - .actual_access:  read_only
        .address_space:  global
        .offset:         16
        .size:           8
        .value_kind:     global_buffer
      - .actual_access:  read_only
        .address_space:  global
        .offset:         24
        .size:           8
        .value_kind:     global_buffer
      - .offset:         32
        .size:           8
        .value_kind:     by_value
      - .actual_access:  read_only
        .address_space:  global
        .offset:         40
        .size:           8
        .value_kind:     global_buffer
      - .actual_access:  read_only
        .address_space:  global
        .offset:         48
        .size:           8
        .value_kind:     global_buffer
      - .offset:         56
        .size:           4
        .value_kind:     by_value
      - .actual_access:  read_only
        .address_space:  global
        .offset:         64
        .size:           8
        .value_kind:     global_buffer
      - .actual_access:  read_only
        .address_space:  global
        .offset:         72
        .size:           8
        .value_kind:     global_buffer
      - .address_space:  global
        .offset:         80
        .size:           8
        .value_kind:     global_buffer
    .group_segment_fixed_size: 0
    .kernarg_segment_align: 8
    .kernarg_segment_size: 88
    .language:       OpenCL C
    .language_version:
      - 2
      - 0
    .max_flat_workgroup_size: 216
    .name:           fft_rtc_fwd_len540_factors_3_10_6_3_wgs_216_tpt_54_halfLds_half_ip_CI_unitstride_sbrr_R2C_dirReg
    .private_segment_fixed_size: 0
    .sgpr_count:     26
    .sgpr_spill_count: 0
    .symbol:         fft_rtc_fwd_len540_factors_3_10_6_3_wgs_216_tpt_54_halfLds_half_ip_CI_unitstride_sbrr_R2C_dirReg.kd
    .uniform_work_group_size: 1
    .uses_dynamic_stack: false
    .vgpr_count:     61
    .vgpr_spill_count: 0
    .wavefront_size: 64
amdhsa.target:   amdgcn-amd-amdhsa--gfx906
amdhsa.version:
  - 1
  - 2
...

	.end_amdgpu_metadata
